;; amdgpu-corpus repo=ROCm/rocFFT kind=compiled arch=gfx906 opt=O3
	.text
	.amdgcn_target "amdgcn-amd-amdhsa--gfx906"
	.amdhsa_code_object_version 6
	.protected	fft_rtc_fwd_len208_factors_13_16_wgs_144_tpt_16_half_ip_CI_sbcc ; -- Begin function fft_rtc_fwd_len208_factors_13_16_wgs_144_tpt_16_half_ip_CI_sbcc
	.globl	fft_rtc_fwd_len208_factors_13_16_wgs_144_tpt_16_half_ip_CI_sbcc
	.p2align	8
	.type	fft_rtc_fwd_len208_factors_13_16_wgs_144_tpt_16_half_ip_CI_sbcc,@function
fft_rtc_fwd_len208_factors_13_16_wgs_144_tpt_16_half_ip_CI_sbcc: ; @fft_rtc_fwd_len208_factors_13_16_wgs_144_tpt_16_half_ip_CI_sbcc
; %bb.0:
	s_load_dwordx4 s[0:3], s[4:5], 0x18
	s_mov_b32 s7, 0
	s_mov_b64 s[22:23], 0
	s_waitcnt lgkmcnt(0)
	s_load_dwordx2 s[16:17], s[0:1], 0x8
	s_waitcnt lgkmcnt(0)
	s_add_u32 s8, s16, -1
	s_addc_u32 s9, s17, -1
	s_add_u32 s10, 0, 0x71c4fc00
	s_addc_u32 s11, 0, 0x7c
	s_mul_hi_u32 s13, s10, -9
	s_add_i32 s11, s11, 0x1c71c6a0
	s_sub_i32 s13, s13, s10
	s_mul_i32 s18, s11, -9
	s_mul_i32 s12, s10, -9
	s_add_i32 s13, s13, s18
	s_mul_hi_u32 s14, s11, s12
	s_mul_i32 s15, s11, s12
	s_mul_i32 s19, s10, s13
	s_mul_hi_u32 s12, s10, s12
	s_mul_hi_u32 s18, s10, s13
	s_add_u32 s12, s12, s19
	s_addc_u32 s18, 0, s18
	s_add_u32 s12, s12, s15
	s_mul_hi_u32 s19, s11, s13
	s_addc_u32 s12, s18, s14
	s_addc_u32 s14, s19, 0
	s_mul_i32 s13, s11, s13
	s_add_u32 s12, s12, s13
	v_mov_b32_e32 v1, s12
	s_addc_u32 s13, 0, s14
	v_add_co_u32_e32 v1, vcc, s10, v1
	s_cmp_lg_u64 vcc, 0
	s_addc_u32 s10, s11, s13
	v_readfirstlane_b32 s13, v1
	s_mul_i32 s12, s8, s10
	s_mul_hi_u32 s14, s8, s13
	s_mul_hi_u32 s11, s8, s10
	s_add_u32 s12, s14, s12
	s_addc_u32 s11, 0, s11
	s_mul_hi_u32 s15, s9, s13
	s_mul_i32 s13, s9, s13
	s_add_u32 s12, s12, s13
	s_mul_hi_u32 s14, s9, s10
	s_addc_u32 s11, s11, s15
	s_addc_u32 s12, s14, 0
	s_mul_i32 s10, s9, s10
	s_add_u32 s10, s11, s10
	s_addc_u32 s11, 0, s12
	s_add_u32 s12, s10, 1
	s_addc_u32 s13, s11, 0
	s_add_u32 s14, s10, 2
	s_mul_i32 s18, s11, 9
	s_mul_hi_u32 s19, s10, 9
	s_addc_u32 s15, s11, 0
	s_add_i32 s19, s19, s18
	s_mul_i32 s18, s10, 9
	v_mov_b32_e32 v1, s18
	v_sub_co_u32_e32 v1, vcc, s8, v1
	s_cmp_lg_u64 vcc, 0
	s_subb_u32 s8, s9, s19
	v_subrev_co_u32_e32 v2, vcc, 9, v1
	s_cmp_lg_u64 vcc, 0
	s_subb_u32 s9, s8, 0
	v_readfirstlane_b32 s18, v2
	s_cmp_gt_u32 s18, 8
	s_cselect_b32 s18, -1, 0
	s_cmp_eq_u32 s9, 0
	s_cselect_b32 s9, s18, -1
	s_cmp_lg_u32 s9, 0
	s_cselect_b32 s9, s14, s12
	s_cselect_b32 s12, s15, s13
	v_readfirstlane_b32 s13, v1
	s_cmp_gt_u32 s13, 8
	s_cselect_b32 s13, -1, 0
	s_cmp_eq_u32 s8, 0
	s_cselect_b32 s8, s13, -1
	s_cmp_lg_u32 s8, 0
	s_cselect_b32 s9, s9, s10
	s_cselect_b32 s8, s12, s11
	s_add_u32 s18, s9, 1
	s_addc_u32 s19, s8, 0
	v_mov_b32_e32 v1, s18
	v_mov_b32_e32 v2, s19
	v_cmp_lt_u64_e32 vcc, s[6:7], v[1:2]
	s_cbranch_vccnz .LBB0_2
; %bb.1:
	v_cvt_f32_u32_e32 v1, s18
	s_sub_i32 s8, 0, s18
	s_mov_b32 s23, s7
	v_rcp_iflag_f32_e32 v1, v1
	v_mul_f32_e32 v1, 0x4f7ffffe, v1
	v_cvt_u32_f32_e32 v1, v1
	v_readfirstlane_b32 s9, v1
	s_mul_i32 s8, s8, s9
	s_mul_hi_u32 s8, s9, s8
	s_add_i32 s9, s9, s8
	s_mul_hi_u32 s8, s6, s9
	s_mul_i32 s10, s8, s18
	s_sub_i32 s10, s6, s10
	s_add_i32 s9, s8, 1
	s_sub_i32 s11, s10, s18
	s_cmp_ge_u32 s10, s18
	s_cselect_b32 s8, s9, s8
	s_cselect_b32 s10, s11, s10
	s_add_i32 s9, s8, 1
	s_cmp_ge_u32 s10, s18
	s_cselect_b32 s22, s9, s8
.LBB0_2:
	s_load_dwordx2 s[14:15], s[4:5], 0x0
	s_load_dwordx4 s[8:11], s[2:3], 0x0
	s_load_dwordx2 s[12:13], s[4:5], 0x58
	s_load_dwordx2 s[20:21], s[4:5], 0x10
	s_mul_i32 s4, s22, s19
	s_mul_hi_u32 s5, s22, s18
	s_add_i32 s5, s5, s4
	s_mul_i32 s4, s22, s18
	s_sub_u32 s36, s6, s4
	s_subb_u32 s4, 0, s5
	s_mul_i32 s4, s4, 9
	s_mul_hi_u32 s33, s36, 9
	s_add_i32 s33, s33, s4
	s_mul_i32 s36, s36, 9
	s_waitcnt lgkmcnt(0)
	s_mul_i32 s4, s10, s33
	s_mul_hi_u32 s5, s10, s36
	s_add_i32 s4, s5, s4
	s_mul_i32 s5, s11, s36
	s_add_i32 s37, s4, s5
	v_cmp_lt_u64_e64 s[4:5], s[20:21], 3
	s_mul_i32 s38, s10, s36
	s_and_b64 vcc, exec, s[4:5]
	s_cbranch_vccnz .LBB0_12
; %bb.3:
	s_add_u32 s4, s2, 16
	s_addc_u32 s5, s3, 0
	s_add_u32 s24, s0, 16
	v_mov_b32_e32 v1, s20
	s_addc_u32 s25, s1, 0
	s_mov_b64 s[26:27], 2
	s_mov_b32 s28, 0
	v_mov_b32_e32 v2, s21
.LBB0_4:                                ; =>This Inner Loop Header: Depth=1
	s_load_dwordx2 s[30:31], s[24:25], 0x0
	s_waitcnt lgkmcnt(0)
	s_or_b64 s[0:1], s[22:23], s[30:31]
	s_mov_b32 s29, s1
	s_cmp_lg_u64 s[28:29], 0
	s_cbranch_scc0 .LBB0_9
; %bb.5:                                ;   in Loop: Header=BB0_4 Depth=1
	v_cvt_f32_u32_e32 v3, s30
	v_cvt_f32_u32_e32 v4, s31
	s_sub_u32 s0, 0, s30
	s_subb_u32 s1, 0, s31
	v_mac_f32_e32 v3, 0x4f800000, v4
	v_rcp_f32_e32 v3, v3
	v_mul_f32_e32 v3, 0x5f7ffffc, v3
	v_mul_f32_e32 v4, 0x2f800000, v3
	v_trunc_f32_e32 v4, v4
	v_mac_f32_e32 v3, 0xcf800000, v4
	v_cvt_u32_f32_e32 v4, v4
	v_cvt_u32_f32_e32 v3, v3
	v_readfirstlane_b32 s29, v4
	v_readfirstlane_b32 s34, v3
	s_mul_i32 s35, s0, s29
	s_mul_hi_u32 s40, s0, s34
	s_mul_i32 s39, s1, s34
	s_add_i32 s35, s40, s35
	s_mul_i32 s41, s0, s34
	s_add_i32 s35, s35, s39
	s_mul_hi_u32 s39, s34, s35
	s_mul_i32 s40, s34, s35
	s_mul_hi_u32 s34, s34, s41
	s_add_u32 s34, s34, s40
	s_addc_u32 s39, 0, s39
	s_mul_hi_u32 s42, s29, s41
	s_mul_i32 s41, s29, s41
	s_add_u32 s34, s34, s41
	s_mul_hi_u32 s40, s29, s35
	s_addc_u32 s34, s39, s42
	s_addc_u32 s39, s40, 0
	s_mul_i32 s35, s29, s35
	s_add_u32 s34, s34, s35
	s_addc_u32 s35, 0, s39
	v_add_co_u32_e32 v3, vcc, s34, v3
	s_cmp_lg_u64 vcc, 0
	s_addc_u32 s29, s29, s35
	v_readfirstlane_b32 s35, v3
	s_mul_i32 s34, s0, s29
	s_mul_hi_u32 s39, s0, s35
	s_add_i32 s34, s39, s34
	s_mul_i32 s1, s1, s35
	s_add_i32 s34, s34, s1
	s_mul_i32 s0, s0, s35
	s_mul_hi_u32 s39, s29, s0
	s_mul_i32 s40, s29, s0
	s_mul_i32 s42, s35, s34
	s_mul_hi_u32 s0, s35, s0
	s_mul_hi_u32 s41, s35, s34
	s_add_u32 s0, s0, s42
	s_addc_u32 s35, 0, s41
	s_add_u32 s0, s0, s40
	s_mul_hi_u32 s1, s29, s34
	s_addc_u32 s0, s35, s39
	s_addc_u32 s1, s1, 0
	s_mul_i32 s34, s29, s34
	s_add_u32 s0, s0, s34
	s_addc_u32 s1, 0, s1
	v_add_co_u32_e32 v3, vcc, s0, v3
	s_cmp_lg_u64 vcc, 0
	s_addc_u32 s0, s29, s1
	v_readfirstlane_b32 s34, v3
	s_mul_i32 s29, s22, s0
	s_mul_hi_u32 s35, s22, s34
	s_mul_hi_u32 s1, s22, s0
	s_add_u32 s29, s35, s29
	s_addc_u32 s1, 0, s1
	s_mul_hi_u32 s39, s23, s34
	s_mul_i32 s34, s23, s34
	s_add_u32 s29, s29, s34
	s_mul_hi_u32 s35, s23, s0
	s_addc_u32 s1, s1, s39
	s_addc_u32 s29, s35, 0
	s_mul_i32 s0, s23, s0
	s_add_u32 s34, s1, s0
	s_addc_u32 s29, 0, s29
	s_mul_i32 s0, s30, s29
	s_mul_hi_u32 s1, s30, s34
	s_add_i32 s0, s1, s0
	s_mul_i32 s1, s31, s34
	s_add_i32 s35, s0, s1
	s_mul_i32 s1, s30, s34
	v_mov_b32_e32 v3, s1
	s_sub_i32 s0, s23, s35
	v_sub_co_u32_e32 v3, vcc, s22, v3
	s_cmp_lg_u64 vcc, 0
	s_subb_u32 s39, s0, s31
	v_subrev_co_u32_e64 v4, s[0:1], s30, v3
	s_cmp_lg_u64 s[0:1], 0
	s_subb_u32 s0, s39, 0
	s_cmp_ge_u32 s0, s31
	v_readfirstlane_b32 s39, v4
	s_cselect_b32 s1, -1, 0
	s_cmp_ge_u32 s39, s30
	s_cselect_b32 s39, -1, 0
	s_cmp_eq_u32 s0, s31
	s_cselect_b32 s0, s39, s1
	s_add_u32 s1, s34, 1
	s_addc_u32 s39, s29, 0
	s_add_u32 s40, s34, 2
	s_addc_u32 s41, s29, 0
	s_cmp_lg_u32 s0, 0
	s_cselect_b32 s0, s40, s1
	s_cselect_b32 s1, s41, s39
	s_cmp_lg_u64 vcc, 0
	s_subb_u32 s35, s23, s35
	s_cmp_ge_u32 s35, s31
	v_readfirstlane_b32 s40, v3
	s_cselect_b32 s39, -1, 0
	s_cmp_ge_u32 s40, s30
	s_cselect_b32 s40, -1, 0
	s_cmp_eq_u32 s35, s31
	s_cselect_b32 s35, s40, s39
	s_cmp_lg_u32 s35, 0
	s_cselect_b32 s1, s1, s29
	s_cselect_b32 s0, s0, s34
	s_cbranch_execnz .LBB0_7
.LBB0_6:                                ;   in Loop: Header=BB0_4 Depth=1
	v_cvt_f32_u32_e32 v3, s30
	s_sub_i32 s0, 0, s30
	v_rcp_iflag_f32_e32 v3, v3
	v_mul_f32_e32 v3, 0x4f7ffffe, v3
	v_cvt_u32_f32_e32 v3, v3
	v_readfirstlane_b32 s1, v3
	s_mul_i32 s0, s0, s1
	s_mul_hi_u32 s0, s1, s0
	s_add_i32 s1, s1, s0
	s_mul_hi_u32 s0, s22, s1
	s_mul_i32 s29, s0, s30
	s_sub_i32 s29, s22, s29
	s_add_i32 s1, s0, 1
	s_sub_i32 s34, s29, s30
	s_cmp_ge_u32 s29, s30
	s_cselect_b32 s0, s1, s0
	s_cselect_b32 s29, s34, s29
	s_add_i32 s1, s0, 1
	s_cmp_ge_u32 s29, s30
	s_cselect_b32 s0, s1, s0
	s_mov_b32 s1, s28
.LBB0_7:                                ;   in Loop: Header=BB0_4 Depth=1
	s_mul_i32 s19, s30, s19
	s_mul_hi_u32 s29, s30, s18
	s_add_i32 s19, s29, s19
	s_mul_i32 s29, s31, s18
	s_add_i32 s19, s19, s29
	s_mul_i32 s29, s0, s31
	s_mul_hi_u32 s31, s0, s30
	s_load_dwordx2 s[34:35], s[4:5], 0x0
	s_add_i32 s29, s31, s29
	s_mul_i32 s31, s1, s30
	s_mul_i32 s18, s30, s18
	s_add_i32 s29, s29, s31
	s_mul_i32 s30, s0, s30
	s_sub_u32 s22, s22, s30
	s_subb_u32 s23, s23, s29
	s_waitcnt lgkmcnt(0)
	s_mul_i32 s23, s34, s23
	s_mul_hi_u32 s29, s34, s22
	s_add_i32 s23, s29, s23
	s_mul_i32 s29, s35, s22
	s_add_i32 s23, s23, s29
	s_mul_i32 s22, s34, s22
	s_add_u32 s38, s22, s38
	s_addc_u32 s37, s23, s37
	s_add_u32 s26, s26, 1
	s_addc_u32 s27, s27, 0
	;; [unrolled: 2-line block ×3, first 2 shown]
	v_cmp_ge_u64_e32 vcc, s[26:27], v[1:2]
	s_add_u32 s24, s24, 8
	s_addc_u32 s25, s25, 0
	s_cbranch_vccnz .LBB0_10
; %bb.8:                                ;   in Loop: Header=BB0_4 Depth=1
	s_mov_b64 s[22:23], s[0:1]
	s_branch .LBB0_4
.LBB0_9:                                ;   in Loop: Header=BB0_4 Depth=1
                                        ; implicit-def: $sgpr0_sgpr1
	s_branch .LBB0_6
.LBB0_10:
	v_mov_b32_e32 v1, s18
	v_mov_b32_e32 v2, s19
	v_cmp_lt_u64_e32 vcc, s[6:7], v[1:2]
	s_mov_b64 s[22:23], 0
	s_cbranch_vccnz .LBB0_12
; %bb.11:
	v_cvt_f32_u32_e32 v1, s18
	s_sub_i32 s0, 0, s18
	v_rcp_iflag_f32_e32 v1, v1
	v_mul_f32_e32 v1, 0x4f7ffffe, v1
	v_cvt_u32_f32_e32 v1, v1
	v_readfirstlane_b32 s1, v1
	s_mul_i32 s0, s0, s1
	s_mul_hi_u32 s0, s1, s0
	s_add_i32 s1, s1, s0
	s_mul_hi_u32 s0, s6, s1
	s_mul_i32 s4, s0, s18
	s_sub_i32 s4, s6, s4
	s_add_i32 s1, s0, 1
	s_sub_i32 s5, s4, s18
	s_cmp_ge_u32 s4, s18
	s_cselect_b32 s0, s1, s0
	s_cselect_b32 s4, s5, s4
	s_add_i32 s1, s0, 1
	s_cmp_ge_u32 s4, s18
	s_cselect_b32 s22, s1, s0
.LBB0_12:
	s_lshl_b64 s[0:1], s[20:21], 3
	s_add_u32 s0, s2, s0
	s_addc_u32 s1, s3, s1
	s_load_dwordx2 s[0:1], s[0:1], 0x0
	v_mov_b32_e32 v1, s16
	v_mul_u32_u24_e32 v3, 0x1c72, v0
	v_mov_b32_e32 v2, s17
	v_lshrrev_b32_e32 v14, 16, v3
	s_waitcnt lgkmcnt(0)
	s_mul_i32 s1, s1, s22
	s_mul_hi_u32 s2, s0, s22
	s_mul_i32 s0, s0, s22
	s_add_i32 s1, s2, s1
	s_add_u32 s2, s0, s38
	s_addc_u32 s3, s1, s37
	s_add_u32 s0, s36, 9
	s_addc_u32 s1, s33, 0
	v_cmp_le_u64_e32 vcc, s[0:1], v[1:2]
	v_mul_lo_u16_e32 v1, 9, v14
	v_sub_u16_e32 v19, v0, v1
	v_mov_b32_e32 v2, s33
	v_add_co_u32_e64 v1, s[0:1], s36, v19
	v_addc_co_u32_e64 v2, s[0:1], 0, v2, s[0:1]
	v_cmp_gt_u64_e64 s[0:1], s[16:17], v[1:2]
	s_mov_b32 s6, 0xffff
	s_or_b64 s[0:1], vcc, s[0:1]
	v_lshlrev_b32_e32 v20, 2, v14
	v_add_u32_e32 v18, 16, v14
	v_or_b32_e32 v17, 32, v14
	v_add_u32_e32 v16, 48, v14
	v_or_b32_e32 v15, 64, v14
	s_and_saveexec_b64 s[4:5], s[0:1]
	s_cbranch_execz .LBB0_14
; %bb.13:
	v_mad_u64_u32 v[1:2], s[16:17], s10, v19, 0
	v_mad_u64_u32 v[3:4], s[16:17], s8, v14, 0
	v_add_u32_e32 v13, 0x50, v14
	v_or_b32_e32 v23, 0x60, v14
	v_mad_u64_u32 v[5:6], s[16:17], s11, v19, v[2:3]
	v_mov_b32_e32 v2, v4
	v_mad_u64_u32 v[6:7], s[16:17], s9, v14, v[2:3]
	s_lshl_b64 s[16:17], s[2:3], 2
	s_add_u32 s7, s12, s16
	s_addc_u32 s16, s13, s17
	v_mov_b32_e32 v2, v5
	v_mov_b32_e32 v4, v6
	;; [unrolled: 1-line block ×3, first 2 shown]
	v_mad_u64_u32 v[5:6], s[16:17], s8, v18, 0
	v_lshlrev_b64 v[1:2], 2, v[1:2]
	v_mad_u64_u32 v[9:10], s[16:17], s8, v16, 0
	v_add_co_u32_e32 v37, vcc, s7, v1
	v_addc_co_u32_e32 v38, vcc, v7, v2, vcc
	v_lshlrev_b64 v[1:2], 2, v[3:4]
	v_mov_b32_e32 v3, v6
	v_mad_u64_u32 v[3:4], s[16:17], s9, v18, v[3:4]
	v_mad_u64_u32 v[7:8], s[16:17], s8, v17, 0
	v_mov_b32_e32 v6, v3
	v_lshlrev_b64 v[3:4], 2, v[5:6]
	v_mov_b32_e32 v5, v8
	v_mad_u64_u32 v[5:6], s[16:17], s9, v17, v[5:6]
	v_mad_u64_u32 v[11:12], s[16:17], s8, v15, 0
	v_mov_b32_e32 v8, v5
	;; [unrolled: 5-line block ×3, first 2 shown]
	v_lshlrev_b64 v[7:8], 2, v[9:10]
	v_mov_b32_e32 v9, v12
	v_mad_u64_u32 v[9:10], s[16:17], s9, v15, v[9:10]
	v_add_u32_e32 v26, 0x70, v14
	v_or_b32_e32 v28, 0x80, v14
	v_mov_b32_e32 v12, v9
	v_lshlrev_b64 v[9:10], 2, v[11:12]
	v_mov_b32_e32 v11, v22
	v_mad_u64_u32 v[11:12], s[16:17], s9, v13, v[11:12]
	v_mad_u64_u32 v[12:13], s[16:17], s8, v23, 0
	v_mov_b32_e32 v22, v11
	v_add_u32_e32 v30, 0x90, v14
	v_mov_b32_e32 v11, v13
	v_mad_u64_u32 v[23:24], s[16:17], s9, v23, v[11:12]
	v_mad_u64_u32 v[24:25], s[16:17], s8, v26, 0
	v_mov_b32_e32 v13, v23
	v_lshlrev_b64 v[11:12], 2, v[12:13]
	v_mov_b32_e32 v13, v25
	v_mad_u64_u32 v[25:26], s[16:17], s9, v26, v[13:14]
	v_mad_u64_u32 v[26:27], s[16:17], s8, v28, 0
	v_add_co_u32_e32 v1, vcc, v37, v1
	v_mov_b32_e32 v13, v27
	v_mad_u64_u32 v[27:28], s[16:17], s9, v28, v[13:14]
	v_mad_u64_u32 v[28:29], s[16:17], s8, v30, 0
	v_addc_co_u32_e32 v2, vcc, v38, v2, vcc
	v_mov_b32_e32 v13, v29
	v_mad_u64_u32 v[29:30], s[16:17], s9, v30, v[13:14]
	v_or_b32_e32 v32, 0xa0, v14
	v_add_co_u32_e32 v3, vcc, v37, v3
	v_mad_u64_u32 v[30:31], s[16:17], s8, v32, 0
	v_addc_co_u32_e32 v4, vcc, v38, v4, vcc
	v_add_co_u32_e32 v5, vcc, v37, v5
	v_addc_co_u32_e32 v6, vcc, v38, v6, vcc
	v_add_co_u32_e32 v7, vcc, v37, v7
	v_mov_b32_e32 v13, v31
	v_addc_co_u32_e32 v8, vcc, v38, v8, vcc
	v_mad_u64_u32 v[31:32], s[16:17], s9, v32, v[13:14]
	v_add_u32_e32 v34, 0xb0, v14
	v_add_co_u32_e32 v9, vcc, v37, v9
	v_lshlrev_b64 v[21:22], 2, v[21:22]
	v_mad_u64_u32 v[32:33], s[16:17], s8, v34, 0
	v_addc_co_u32_e32 v10, vcc, v38, v10, vcc
	v_add_co_u32_e32 v21, vcc, v37, v21
	v_addc_co_u32_e32 v22, vcc, v38, v22, vcc
	v_add_co_u32_e32 v11, vcc, v37, v11
	v_lshlrev_b64 v[23:24], 2, v[24:25]
	v_mov_b32_e32 v13, v33
	v_addc_co_u32_e32 v12, vcc, v38, v12, vcc
	v_mad_u64_u32 v[33:34], s[16:17], s9, v34, v[13:14]
	v_or_b32_e32 v36, 0xc0, v14
	v_add_co_u32_e32 v23, vcc, v37, v23
	v_lshlrev_b64 v[25:26], 2, v[26:27]
	v_mad_u64_u32 v[34:35], s[16:17], s8, v36, 0
	v_addc_co_u32_e32 v24, vcc, v38, v24, vcc
	v_add_co_u32_e32 v25, vcc, v37, v25
	v_lshlrev_b64 v[27:28], 2, v[28:29]
	v_addc_co_u32_e32 v26, vcc, v38, v26, vcc
	v_add_co_u32_e32 v27, vcc, v37, v27
	v_lshlrev_b64 v[29:30], 2, v[30:31]
	v_mov_b32_e32 v13, v35
	v_addc_co_u32_e32 v28, vcc, v38, v28, vcc
	v_mad_u64_u32 v[35:36], s[16:17], s9, v36, v[13:14]
	v_add_co_u32_e32 v29, vcc, v37, v29
	v_lshlrev_b64 v[31:32], 2, v[32:33]
	v_addc_co_u32_e32 v30, vcc, v38, v30, vcc
	global_load_dword v13, v[1:2], off
	global_load_dword v33, v[3:4], off
	v_add_co_u32_e32 v1, vcc, v37, v31
	v_addc_co_u32_e32 v2, vcc, v38, v32, vcc
	global_load_dword v31, v[5:6], off
	global_load_dword v32, v[7:8], off
	v_lshlrev_b64 v[3:4], 2, v[34:35]
	global_load_dword v5, v[9:10], off
	global_load_dword v6, v[21:22], off
	;; [unrolled: 1-line block ×8, first 2 shown]
	v_add_co_u32_e32 v1, vcc, v37, v3
	v_addc_co_u32_e32 v2, vcc, v38, v4, vcc
	global_load_dword v1, v[1:2], off
	v_mul_u32_u24_e32 v2, 0x340, v19
	v_add3_u32 v2, 0, v2, v20
	s_waitcnt vmcnt(11)
	ds_write2_b32 v2, v13, v33 offset1:16
	s_waitcnt vmcnt(9)
	ds_write2_b32 v2, v31, v32 offset0:32 offset1:48
	s_waitcnt vmcnt(7)
	ds_write2_b32 v2, v5, v6 offset0:64 offset1:80
	;; [unrolled: 2-line block ×5, first 2 shown]
	s_waitcnt vmcnt(0)
	ds_write_b32 v2, v1 offset:768
.LBB0_14:
	s_or_b64 exec, exec, s[4:5]
	s_add_u32 s4, 0, 0x71c4fc00
	s_addc_u32 s5, 0, 0x7c
	s_add_i32 s5, s5, 0x1c71c6a0
	s_mul_hi_u32 s18, s4, -9
	s_sub_i32 s18, s18, s4
	s_mul_i32 s19, s5, -9
	s_mul_i32 s7, s4, -9
	s_add_i32 s18, s18, s19
	s_mul_hi_u32 s16, s5, s7
	s_mul_i32 s17, s5, s7
	s_mul_i32 s20, s4, s18
	s_mul_hi_u32 s7, s4, s7
	s_mul_hi_u32 s19, s4, s18
	s_add_u32 s7, s7, s20
	s_addc_u32 s19, 0, s19
	s_add_u32 s7, s7, s17
	s_mul_hi_u32 s20, s5, s18
	s_addc_u32 s7, s19, s16
	v_lshrrev_b32_e32 v1, 4, v0
	s_addc_u32 s16, s20, 0
	s_mul_i32 s17, s5, s18
	v_mov_b32_e32 v2, s33
	v_add_co_u32_e32 v5, vcc, s36, v1
	s_add_u32 s7, s7, s17
	v_addc_co_u32_e32 v6, vcc, 0, v2, vcc
	v_mov_b32_e32 v1, s7
	s_addc_u32 s16, 0, s16
	v_add_co_u32_e32 v3, vcc, s4, v1
	s_cmp_lg_u64 vcc, 0
	s_addc_u32 s7, s5, s16
	v_mad_u64_u32 v[1:2], s[4:5], v5, s7, 0
	v_mul_hi_u32 v4, v5, v3
	v_and_b32_e32 v24, 15, v0
	s_waitcnt lgkmcnt(0)
	s_barrier
	v_add_co_u32_e32 v7, vcc, v4, v1
	v_addc_co_u32_e32 v8, vcc, 0, v2, vcc
	v_mad_u64_u32 v[1:2], s[4:5], v6, v3, 0
	v_mad_u64_u32 v[3:4], s[4:5], v6, s7, 0
	v_add_co_u32_e32 v1, vcc, v7, v1
	v_addc_co_u32_e32 v1, vcc, v8, v2, vcc
	v_addc_co_u32_e32 v2, vcc, 0, v4, vcc
	v_add_co_u32_e32 v1, vcc, v1, v3
	v_addc_co_u32_e32 v3, vcc, 0, v2, vcc
	v_mad_u64_u32 v[1:2], s[4:5], v1, 9, 0
	s_movk_i32 s7, 0x3b15
	v_mad_u64_u32 v[2:3], s[4:5], v3, 9, v[2:3]
	v_sub_co_u32_e32 v1, vcc, v5, v1
	v_subb_co_u32_e32 v2, vcc, v6, v2, vcc
	v_subrev_co_u32_e32 v3, vcc, 9, v1
	v_subbrev_co_u32_e32 v4, vcc, 0, v2, vcc
	v_cmp_lt_u32_e32 vcc, 8, v3
	v_cndmask_b32_e64 v5, 0, -1, vcc
	v_cmp_eq_u32_e32 vcc, 0, v4
	v_cndmask_b32_e32 v4, -1, v5, vcc
	v_add_u32_e32 v5, -9, v3
	v_cmp_ne_u32_e32 vcc, 0, v4
	v_cndmask_b32_e32 v3, v3, v5, vcc
	v_cmp_lt_u32_e32 vcc, 8, v1
	v_cndmask_b32_e64 v4, 0, -1, vcc
	v_cmp_eq_u32_e32 vcc, 0, v2
	v_cndmask_b32_e32 v2, -1, v4, vcc
	v_cmp_ne_u32_e32 vcc, 0, v2
	v_cndmask_b32_e32 v1, v1, v3, vcc
	v_mul_u32_u24_e32 v1, 0xd0, v1
	v_lshlrev_b32_e32 v0, 2, v1
	v_lshlrev_b32_e32 v1, 2, v24
	v_add3_u32 v21, 0, v1, v0
	v_add3_u32 v22, 0, v0, v1
	ds_read2_b32 v[0:1], v21 offset0:48 offset1:64
	ds_read_b32 v9, v22
	ds_read2_b32 v[2:3], v21 offset0:16 offset1:32
	ds_read2_b32 v[4:5], v21 offset0:80 offset1:96
	;; [unrolled: 1-line block ×5, first 2 shown]
	s_waitcnt lgkmcnt(4)
	v_pk_add_f16 v8, v9, v2
	v_pk_add_f16 v8, v8, v3
	;; [unrolled: 1-line block ×4, first 2 shown]
	s_waitcnt lgkmcnt(3)
	v_pk_add_f16 v8, v8, v4
	v_pk_add_f16 v8, v8, v5
	s_waitcnt lgkmcnt(2)
	v_pk_add_f16 v8, v8, v6
	v_pk_add_f16 v8, v8, v7
	;; [unrolled: 3-line block ×3, first 2 shown]
	s_waitcnt lgkmcnt(0)
	v_pk_add_f16 v10, v2, v26 neg_lo:[0,1] neg_hi:[0,1]
	s_mov_b32 s4, 0xb770
	v_pk_add_f16 v8, v8, v25
	v_pk_add_f16 v11, v26, v2
	v_mul_f16_sdwa v2, v10, s4 dst_sel:DWORD dst_unused:UNUSED_PAD src0_sel:WORD_1 src1_sel:DWORD
	s_mov_b32 s23, 0xba95
	v_pk_add_f16 v34, v3, v25 neg_lo:[0,1] neg_hi:[0,1]
	v_pk_add_f16 v23, v8, v26
	v_fma_f16 v8, v11, s7, -v2
	v_fma_f16 v2, v11, s7, v2
	s_movk_i32 s5, 0x388b
	v_pk_add_f16 v33, v25, v3
	v_mul_f16_sdwa v3, v34, s23 dst_sel:DWORD dst_unused:UNUSED_PAD src0_sel:WORD_1 src1_sel:DWORD
	v_add_f16_e32 v2, v9, v2
	v_mul_f16_sdwa v26, v10, s23 dst_sel:DWORD dst_unused:UNUSED_PAD src0_sel:WORD_1 src1_sel:DWORD
	s_mov_b32 s16, 0xbb7b
	v_fma_f16 v25, v33, s5, -v3
	v_fma_f16 v3, v33, s5, v3
	v_add_f16_e32 v8, v9, v8
	v_fma_f16 v27, v11, s5, -v26
	v_fma_f16 v26, v11, s5, v26
	s_mov_b32 s25, 0xbbf1
	s_mov_b32 s17, 0xb5ac
	v_add_f16_e32 v2, v3, v2
	v_mul_f16_sdwa v3, v34, s16 dst_sel:DWORD dst_unused:UNUSED_PAD src0_sel:WORD_1 src1_sel:DWORD
	v_add_f16_e32 v26, v9, v26
	v_mul_f16_sdwa v28, v10, s25 dst_sel:DWORD dst_unused:UNUSED_PAD src0_sel:WORD_1 src1_sel:DWORD
	s_movk_i32 s4, 0x2fb7
	v_add_f16_e32 v8, v25, v8
	v_fma_f16 v25, v33, s17, -v3
	v_fma_f16 v3, v33, s17, v3
	s_mov_b32 s21, 0xb3a8
	v_add_f16_e32 v27, v9, v27
	v_fma_f16 v29, v11, s4, -v28
	v_add_f16_e32 v3, v3, v26
	v_mul_f16_sdwa v26, v34, s21 dst_sel:DWORD dst_unused:UNUSED_PAD src0_sel:WORD_1 src1_sel:DWORD
	s_mov_b32 s22, 0xbbc4
	v_add_f16_e32 v29, v9, v29
	v_mul_f16_sdwa v30, v10, s16 dst_sel:DWORD dst_unused:UNUSED_PAD src0_sel:WORD_1 src1_sel:DWORD
	v_add_f16_e32 v25, v25, v27
	v_fma_f16 v27, v33, s22, -v26
	s_movk_i32 s26, 0x394e
	v_fma_f16 v31, v11, s17, -v30
	s_mov_b32 s19, 0xb9fd
	v_add_f16_e32 v27, v27, v29
	v_mul_f16_sdwa v29, v34, s26 dst_sel:DWORD dst_unused:UNUSED_PAD src0_sel:WORD_1 src1_sel:DWORD
	v_pk_add_f16 v35, v13, v0
	v_pk_add_f16 v13, v0, v13 neg_lo:[0,1] neg_hi:[0,1]
	v_add_f16_e32 v31, v9, v31
	v_fma_f16 v32, v33, s19, -v29
	v_mul_f16_sdwa v0, v13, s25 dst_sel:DWORD dst_unused:UNUSED_PAD src0_sel:WORD_1 src1_sel:DWORD
	v_add_f16_e32 v31, v32, v31
	v_fma_f16 v32, v35, s4, -v0
	v_fma_f16 v0, v35, s4, v0
	v_add_f16_e32 v0, v0, v2
	v_mul_f16_sdwa v2, v13, s21 dst_sel:DWORD dst_unused:UNUSED_PAD src0_sel:WORD_1 src1_sel:DWORD
	v_add_f16_e32 v8, v32, v8
	v_fma_f16 v32, v35, s22, -v2
	s_movk_i32 s24, 0x3b7b
	v_add_f16_e32 v25, v32, v25
	v_fma_f16 v2, v35, s22, v2
	v_mul_f16_sdwa v32, v13, s24 dst_sel:DWORD dst_unused:UNUSED_PAD src0_sel:WORD_1 src1_sel:DWORD
	v_add_f16_e32 v2, v2, v3
	v_fma_f16 v3, v35, s17, -v32
	s_movk_i32 s24, 0x3770
	v_add_f16_e32 v3, v3, v27
	v_mul_f16_sdwa v27, v13, s24 dst_sel:DWORD dst_unused:UNUSED_PAD src0_sel:WORD_1 src1_sel:DWORD
	v_fma_f16 v36, v35, s7, -v27
	v_add_f16_e32 v31, v36, v31
	v_pk_add_f16 v36, v12, v1
	v_pk_add_f16 v12, v1, v12 neg_lo:[0,1] neg_hi:[0,1]
	s_mov_b32 s18, 0xb94e
	v_mul_f16_sdwa v1, v12, s16 dst_sel:DWORD dst_unused:UNUSED_PAD src0_sel:WORD_1 src1_sel:DWORD
	v_pk_add_f16 v40, v4, v7 neg_lo:[0,1] neg_hi:[0,1]
	v_fma_f16 v37, v36, s17, -v1
	v_fma_f16 v1, v36, s17, v1
	v_pk_add_f16 v39, v7, v4
	v_mul_f16_sdwa v4, v40, s18 dst_sel:DWORD dst_unused:UNUSED_PAD src0_sel:WORD_1 src1_sel:DWORD
	s_movk_i32 s20, 0x3bf1
	v_add_f16_e32 v0, v1, v0
	v_mul_f16_sdwa v1, v12, s26 dst_sel:DWORD dst_unused:UNUSED_PAD src0_sel:WORD_1 src1_sel:DWORD
	v_fma_f16 v7, v39, s19, -v4
	v_fma_f16 v4, v39, s19, v4
	v_add_f16_e32 v8, v37, v8
	v_fma_f16 v37, v36, s19, -v1
	v_add_f16_e32 v0, v4, v0
	v_mul_f16_sdwa v4, v40, s20 dst_sel:DWORD dst_unused:UNUSED_PAD src0_sel:WORD_1 src1_sel:DWORD
	v_add_f16_e32 v25, v37, v25
	v_fma_f16 v1, v36, s19, v1
	v_mul_f16_sdwa v37, v12, s24 dst_sel:DWORD dst_unused:UNUSED_PAD src0_sel:WORD_1 src1_sel:DWORD
	v_add_f16_e32 v7, v7, v8
	v_fma_f16 v8, v39, s4, -v4
	v_add_f16_e32 v1, v1, v2
	v_fma_f16 v2, v36, s7, -v37
	v_add_f16_e32 v8, v8, v25
	v_fma_f16 v4, v39, s4, v4
	v_mul_f16_sdwa v25, v40, s23 dst_sel:DWORD dst_unused:UNUSED_PAD src0_sel:WORD_1 src1_sel:DWORD
	v_add_f16_e32 v2, v2, v3
	v_add_f16_e32 v4, v4, v1
	v_fma_f16 v1, v39, s5, -v25
	v_pk_add_f16 v42, v5, v6 neg_lo:[0,1] neg_hi:[0,1]
	v_add_f16_e32 v2, v1, v2
	v_pk_add_f16 v41, v6, v5
	v_mul_f16_sdwa v1, v42, s21 dst_sel:DWORD dst_unused:UNUSED_PAD src0_sel:WORD_1 src1_sel:DWORD
	v_fma_f16 v5, v41, s22, -v1
	v_add_f16_e32 v6, v5, v7
	v_mul_f16_sdwa v5, v42, s24 dst_sel:DWORD dst_unused:UNUSED_PAD src0_sel:WORD_1 src1_sel:DWORD
	v_mul_f16_sdwa v38, v12, s25 dst_sel:DWORD dst_unused:UNUSED_PAD src0_sel:WORD_1 src1_sel:DWORD
	s_movk_i32 s25, 0x33a8
	v_fma_f16 v7, v41, s7, -v5
	v_fma_f16 v1, v41, s22, v1
	v_fma_f16 v3, v36, s4, -v38
	v_add_f16_e32 v7, v7, v8
	v_mul_f16_sdwa v8, v40, s25 dst_sel:DWORD dst_unused:UNUSED_PAD src0_sel:WORD_1 src1_sel:DWORD
	v_add_f16_e32 v1, v1, v0
	v_fma_f16 v0, v41, s7, v5
	v_add_f16_e32 v3, v3, v31
	v_fma_f16 v31, v39, s22, -v8
	v_add_f16_e32 v0, v0, v4
	v_mul_f16_sdwa v4, v42, s18 dst_sel:DWORD dst_unused:UNUSED_PAD src0_sel:WORD_1 src1_sel:DWORD
	s_movk_i32 s26, 0x3a95
	v_add_f16_e32 v3, v31, v3
	v_fma_f16 v5, v41, s19, -v4
	v_mul_f16_sdwa v31, v42, s26 dst_sel:DWORD dst_unused:UNUSED_PAD src0_sel:WORD_1 src1_sel:DWORD
	v_add_f16_e32 v2, v5, v2
	v_fma_f16 v5, v41, s5, -v31
	v_lshrrev_b32_e32 v43, 16, v11
	v_mul_f16_e32 v44, 0xba95, v10
	v_add_f16_e32 v3, v5, v3
	v_fma_f16 v5, v43, s5, v44
	v_lshrrev_b32_e32 v45, 16, v33
	v_mul_f16_e32 v46, 0xbb7b, v34
	v_add_f16_sdwa v5, v9, v5 dst_sel:DWORD dst_unused:UNUSED_PAD src0_sel:WORD_1 src1_sel:DWORD
	v_fma_f16 v47, v45, s17, v46
	v_mul_f16_e32 v48, 0xbbf1, v10
	v_add_f16_e32 v47, v47, v5
	v_fma_f16 v5, v43, s4, v48
	v_mul_f16_e32 v49, 0xb3a8, v34
	v_add_f16_sdwa v5, v9, v5 dst_sel:DWORD dst_unused:UNUSED_PAD src0_sel:WORD_1 src1_sel:DWORD
	v_fma_f16 v50, v45, s22, v49
	v_add_f16_e32 v50, v50, v5
	v_fma_f16 v5, v11, s4, v28
	v_add_f16_e32 v5, v9, v5
	;; [unrolled: 2-line block ×5, first 2 shown]
	v_fma_f16 v28, v35, s17, v32
	v_fma_f16 v27, v35, s7, v27
	v_add_f16_e32 v5, v28, v5
	v_add_f16_e32 v26, v27, v26
	v_fma_f16 v27, v36, s7, v37
	v_add_f16_e32 v5, v27, v5
	v_fma_f16 v27, v36, s4, v38
	v_fma_f16 v25, v39, s5, v25
	v_add_f16_e32 v26, v27, v26
	v_add_f16_e32 v5, v25, v5
	v_fma_f16 v8, v39, s22, v8
	v_fma_f16 v4, v41, s19, v4
	v_add_f16_e32 v8, v8, v26
	v_add_f16_e32 v5, v4, v5
	v_fma_f16 v4, v41, s5, v31
	v_lshrrev_b32_e32 v27, 16, v35
	v_add_f16_e32 v4, v4, v8
	v_mul_f16_e32 v8, 0xb3a8, v13
	v_fma_f16 v25, v27, s22, v8
	v_lshrrev_b32_e32 v29, 16, v36
	v_mul_f16_e32 v30, 0x394e, v12
	v_add_f16_e32 v25, v25, v47
	v_mul_f16_e32 v28, 0x3b7b, v13
	v_fma_f16 v31, v29, s19, v30
	v_fma_f16 v26, v27, s17, v28
	v_add_f16_e32 v25, v31, v25
	v_mul_f16_e32 v31, 0x3770, v12
	v_add_f16_e32 v26, v26, v50
	v_fma_f16 v32, v29, s7, v31
	v_add_f16_e32 v26, v32, v26
	v_lshrrev_b32_e32 v32, 16, v39
	v_mul_f16_e32 v37, 0x3bf1, v40
	v_fma_f16 v38, v32, s4, v37
	v_add_f16_e32 v25, v38, v25
	v_mul_f16_e32 v38, 0xba95, v40
	v_fma_f16 v47, v32, s5, v38
	v_lshrrev_b32_e32 v50, 16, v41
	v_mul_f16_e32 v51, 0x3770, v42
	v_add_f16_e32 v47, v47, v26
	v_fma_f16 v26, v50, s7, v51
	v_mul_f16_e32 v52, 0xb94e, v42
	v_add_f16_e32 v26, v26, v25
	v_fma_f16 v25, v50, s19, v52
	v_add_f16_e32 v25, v25, v47
	v_mad_u32_u24 v47, v24, 48, v21
	v_pack_b32_f16 v53, v2, v25
	v_pack_b32_f16 v54, v7, v26
	s_barrier
	ds_write2_b32 v47, v54, v53 offset0:2 offset1:3
	v_mul_f16_e32 v53, 0xb770, v10
	v_fma_f16 v44, v43, s5, -v44
	v_mul_f16_e32 v55, 0xbb7b, v10
	v_fma_f16 v54, v43, s7, v53
	v_fma_f16 v53, v43, s7, -v53
	v_fma_f16 v48, v43, s4, -v48
	v_fma_f16 v56, v43, s17, v55
	v_fma_f16 v43, v43, s17, -v55
	v_mul_f16_e32 v55, 0xba95, v34
	v_add_f16_sdwa v44, v9, v44 dst_sel:DWORD dst_unused:UNUSED_PAD src0_sel:WORD_1 src1_sel:DWORD
	v_fma_f16 v46, v45, s17, -v46
	v_fma_f16 v57, v45, s5, v55
	v_add_f16_sdwa v53, v9, v53 dst_sel:DWORD dst_unused:UNUSED_PAD src0_sel:WORD_1 src1_sel:DWORD
	v_fma_f16 v55, v45, s5, -v55
	v_add_f16_e32 v44, v46, v44
	v_add_f16_sdwa v46, v9, v48 dst_sel:DWORD dst_unused:UNUSED_PAD src0_sel:WORD_1 src1_sel:DWORD
	v_fma_f16 v48, v45, s22, -v49
	v_mul_f16_e32 v49, 0x394e, v34
	v_add_f16_e32 v53, v55, v53
	v_fma_f16 v55, v45, s19, v49
	v_fma_f16 v45, v45, s19, -v49
	v_add_f16_sdwa v43, v9, v43 dst_sel:DWORD dst_unused:UNUSED_PAD src0_sel:WORD_1 src1_sel:DWORD
	v_add_f16_e32 v43, v45, v43
	v_pk_mul_f16 v45, v10, s18 op_sel_hi:[1,0]
	v_add_f16_sdwa v54, v9, v54 dst_sel:DWORD dst_unused:UNUSED_PAD src0_sel:WORD_1 src1_sel:DWORD
	v_add_f16_e32 v46, v48, v46
	v_add_f16_sdwa v48, v9, v56 dst_sel:DWORD dst_unused:UNUSED_PAD src0_sel:WORD_1 src1_sel:DWORD
	v_pk_fma_f16 v49, v11, s19, v45 op_sel:[0,0,1] op_sel_hi:[1,0,0] neg_lo:[0,0,1] neg_hi:[0,0,1]
	v_pk_fma_f16 v45, v11, s19, v45 op_sel:[0,0,1] op_sel_hi:[1,0,0]
	v_pk_mul_f16 v56, v34, s20 op_sel_hi:[1,0]
	v_add_f16_e32 v54, v57, v54
	v_add_f16_e32 v48, v55, v48
	v_bfi_b32 v55, s6, v45, v49
	v_pk_fma_f16 v57, v33, s4, v56 op_sel:[0,0,1] op_sel_hi:[1,0,0] neg_lo:[0,0,1] neg_hi:[0,0,1]
	v_pk_fma_f16 v56, v33, s4, v56 op_sel:[0,0,1] op_sel_hi:[1,0,0]
	v_pk_add_f16 v55, v9, v55
	v_bfi_b32 v58, s6, v56, v57
	v_fma_f16 v8, v27, s22, -v8
	v_pk_add_f16 v55, v58, v55
	v_mul_f16_e32 v58, 0xbbf1, v13
	v_add_f16_e32 v8, v8, v44
	v_fma_f16 v28, v27, s17, -v28
	v_mul_f16_e32 v44, 0x3770, v13
	v_fma_f16 v59, v27, s4, v58
	v_fma_f16 v58, v27, s4, -v58
	v_add_f16_e32 v28, v28, v46
	v_fma_f16 v46, v27, s7, v44
	v_fma_f16 v27, v27, s7, -v44
	v_add_f16_e32 v27, v27, v43
	v_pk_mul_f16 v43, v13, s23 op_sel_hi:[1,0]
	v_pk_fma_f16 v44, v35, s5, v43 op_sel:[0,0,1] op_sel_hi:[1,0,0] neg_lo:[0,0,1] neg_hi:[0,0,1]
	v_pk_fma_f16 v43, v35, s5, v43 op_sel:[0,0,1] op_sel_hi:[1,0,0]
	v_fma_f16 v30, v29, s19, -v30
	v_add_f16_e32 v46, v46, v48
	v_bfi_b32 v48, s6, v43, v44
	v_add_f16_e32 v8, v30, v8
	v_fma_f16 v30, v29, s7, -v31
	v_pk_add_f16 v48, v48, v55
	v_mul_f16_e32 v55, 0xbb7b, v12
	v_add_f16_e32 v28, v30, v28
	v_mul_f16_e32 v30, 0xbbf1, v12
	v_add_f16_e32 v53, v58, v53
	v_fma_f16 v58, v29, s17, v55
	v_fma_f16 v55, v29, s17, -v55
	v_fma_f16 v31, v29, s4, v30
	v_fma_f16 v29, v29, s4, -v30
	v_fma_f16 v37, v32, s4, -v37
	v_add_f16_e32 v27, v29, v27
	v_pk_mul_f16 v29, v12, s25 op_sel_hi:[1,0]
	v_add_f16_e32 v8, v37, v8
	v_fma_f16 v37, v32, s5, -v38
	v_add_f16_e32 v53, v55, v53
	v_add_f16_e32 v31, v31, v46
	v_pk_fma_f16 v46, v36, s22, v29 op_sel:[0,0,1] op_sel_hi:[1,0,0] neg_lo:[0,0,1] neg_hi:[0,0,1]
	v_pk_fma_f16 v55, v36, s22, v29 op_sel:[0,0,1] op_sel_hi:[1,0,0]
	v_add_f16_e32 v37, v37, v28
	v_mul_f16_e32 v28, 0x33a8, v40
	v_add_f16_e32 v54, v59, v54
	v_bfi_b32 v29, s6, v55, v46
	v_mul_f16_e32 v30, 0xb94e, v40
	v_fma_f16 v38, v32, s22, v28
	v_fma_f16 v28, v32, s22, -v28
	v_add_f16_e32 v54, v58, v54
	v_pk_add_f16 v29, v29, v48
	v_fma_f16 v48, v32, s19, v30
	v_fma_f16 v30, v32, s19, -v30
	v_add_f16_e32 v27, v28, v27
	v_pk_mul_f16 v28, v40, s24 op_sel_hi:[1,0]
	v_add_f16_e32 v48, v48, v54
	v_add_f16_e32 v30, v30, v53
	v_pk_fma_f16 v53, v39, s7, v28 op_sel:[0,0,1] op_sel_hi:[1,0,0] neg_lo:[0,0,1] neg_hi:[0,0,1]
	v_pk_fma_f16 v54, v39, s7, v28 op_sel:[0,0,1] op_sel_hi:[1,0,0]
	v_bfi_b32 v28, s6, v54, v53
	v_pk_add_f16 v58, v28, v29
	v_mul_f16_e32 v28, 0xb3a8, v42
	v_fma_f16 v29, v50, s22, v28
	v_fma_f16 v28, v50, s22, -v28
	v_add_f16_e32 v28, v28, v30
	v_fma_f16 v30, v50, s7, -v51
	v_add_f16_e32 v30, v30, v8
	;; [unrolled: 2-line block ×3, first 2 shown]
	v_add_f16_e32 v31, v8, v37
	v_mul_f16_e32 v8, 0x3a95, v42
	v_add_f16_e32 v29, v29, v48
	v_fma_f16 v32, v50, s5, v8
	v_fma_f16 v8, v50, s5, -v8
	v_add_f16_e32 v27, v8, v27
	v_pack_b32_f16 v8, v6, v29
	ds_write2_b32 v47, v23, v8 offset1:1
	v_bfi_b32 v8, s6, v49, v45
	v_bfi_b32 v37, s6, v57, v56
	v_pk_add_f16 v8, v9, v8
	v_pk_add_f16 v8, v37, v8
	v_bfi_b32 v37, s6, v44, v43
	v_pk_add_f16 v8, v37, v8
	v_bfi_b32 v37, s6, v46, v55
	;; [unrolled: 2-line block ×3, first 2 shown]
	v_pk_add_f16 v8, v37, v8
	v_pk_mul_f16 v37, v42, s16 op_sel_hi:[1,0]
	v_add_f16_e32 v32, v32, v38
	v_pk_fma_f16 v38, v41, s17, v37 op_sel:[0,0,1] op_sel_hi:[1,0,0] neg_lo:[0,0,1] neg_hi:[0,0,1]
	v_pk_fma_f16 v37, v41, s17, v37 op_sel:[0,0,1] op_sel_hi:[1,0,0]
	v_bfi_b32 v43, s6, v37, v38
	v_bfi_b32 v37, s6, v38, v37
	v_pk_add_f16 v8, v37, v8
	v_pack_b32_f16 v37, v3, v32
	v_pk_mul_f16 v11, v11, s22 op_sel_hi:[1,0]
	ds_write2_b32 v47, v37, v8 offset0:4 offset1:5
	v_pk_fma_f16 v37, v10, s21, v11 op_sel:[0,0,1] op_sel_hi:[1,0,0] neg_lo:[1,0,0] neg_hi:[1,0,0]
	v_pk_fma_f16 v10, v10, s21, v11 op_sel:[0,0,1] op_sel_hi:[1,0,0]
	v_alignbit_b32 v11, s0, v37, 16
	v_pk_add_f16 v11, v9, v11
	v_pk_add_f16 v10, v9, v10 op_sel:[1,0] op_sel_hi:[0,1]
	v_alignbit_b32 v9, s0, v9, 16
	v_pk_mul_f16 v33, v33, s7 op_sel_hi:[1,0]
	v_pk_add_f16 v9, v9, v37
	v_pk_fma_f16 v37, v34, s24, v33 op_sel:[0,0,1] op_sel_hi:[1,0,0] neg_lo:[1,0,0] neg_hi:[1,0,0]
	v_pk_fma_f16 v33, v34, s24, v33 op_sel:[0,0,1] op_sel_hi:[1,0,0]
	v_pk_add_f16 v10, v33, v10
	v_pk_mul_f16 v33, v35, s19 op_sel_hi:[1,0]
	v_pk_fma_f16 v34, v13, s18, v33 op_sel:[0,0,1] op_sel_hi:[1,0,0] neg_lo:[1,0,0] neg_hi:[1,0,0]
	v_pk_fma_f16 v13, v13, s18, v33 op_sel:[0,0,1] op_sel_hi:[1,0,0]
	v_pk_add_f16 v9, v37, v9
	v_pk_add_f16 v10, v13, v10
	v_pk_mul_f16 v13, v36, s5 op_sel_hi:[1,0]
	v_alignbit_b32 v35, s0, v34, 16
	v_pk_add_f16 v9, v34, v9
	v_pk_fma_f16 v34, v12, s26, v13 op_sel:[0,0,1] op_sel_hi:[1,0,0] neg_lo:[1,0,0] neg_hi:[1,0,0]
	v_pk_fma_f16 v12, v12, s26, v13 op_sel:[0,0,1] op_sel_hi:[1,0,0]
	v_alignbit_b32 v38, s0, v37, 16
	v_pk_add_f16 v10, v12, v10
	v_pk_mul_f16 v12, v39, s17 op_sel_hi:[1,0]
	v_pk_add_f16 v11, v38, v11
	v_pk_add_f16 v9, v34, v9
	v_pk_fma_f16 v13, v40, s16, v12 op_sel:[0,0,1] op_sel_hi:[1,0,0] neg_lo:[1,0,0] neg_hi:[1,0,0]
	v_pk_fma_f16 v12, v40, s16, v12 op_sel:[0,0,1] op_sel_hi:[1,0,0]
	v_pk_add_f16 v35, v35, v11
	v_alignbit_b32 v33, s0, v34, 16
	v_alignbit_b32 v34, s0, v13, 16
	v_pk_add_f16 v10, v12, v10
	v_pk_add_f16 v12, v13, v9
	v_pk_mul_f16 v13, v41, s4 op_sel_hi:[1,0]
	v_pk_add_f16 v35, v33, v35
	v_pk_fma_f16 v36, v42, s20, v13 op_sel:[0,0,1] op_sel_hi:[1,0,0] neg_lo:[1,0,0] neg_hi:[1,0,0]
	v_pk_add_f16 v34, v34, v35
	v_alignbit_b32 v9, s0, v36, 16
	v_pk_fma_f16 v13, v42, s20, v13 op_sel:[0,0,1] op_sel_hi:[1,0,0]
	v_pk_add_f16 v9, v9, v34
	v_pk_add_f16 v35, v13, v10
	;; [unrolled: 1-line block ×3, first 2 shown]
	v_alignbit_b32 v12, v34, v35, 16
	v_pack_b32_f16 v13, v9, v35
	v_pk_add_f16 v11, v43, v58
	ds_write2_b32 v47, v13, v12 offset0:6 offset1:7
	v_pack_b32_f16 v12, v4, v27
	ds_write2_b32 v47, v11, v12 offset0:8 offset1:9
	v_pack_b32_f16 v12, v0, v30
	v_pack_b32_f16 v13, v5, v31
	v_lshrrev_b32_e32 v33, 16, v8
	v_lshrrev_b32_e32 v10, 16, v35
	ds_write2_b32 v47, v13, v12 offset0:10 offset1:11
	v_pack_b32_f16 v12, v1, v28
	v_cmp_gt_u32_e32 vcc, 13, v24
	ds_write_b32 v47, v12 offset:48
	s_waitcnt lgkmcnt(0)
	s_barrier
	s_waitcnt lgkmcnt(0)
                                        ; implicit-def: $vgpr37
                                        ; implicit-def: $vgpr12
                                        ; implicit-def: $vgpr39
                                        ; implicit-def: $vgpr38
                                        ; implicit-def: $vgpr36
	s_and_saveexec_b64 s[4:5], vcc
	s_cbranch_execz .LBB0_16
; %bb.15:
	ds_read2_b32 v[4:5], v21 offset0:117 offset1:130
	ds_read2_b32 v[6:7], v21 offset0:13 offset1:26
	;; [unrolled: 1-line block ×7, first 2 shown]
	ds_read_b32 v23, v22
	ds_read_b32 v36, v21 offset:780
	s_waitcnt lgkmcnt(8)
	v_lshrrev_b32_e32 v27, 16, v4
	v_lshrrev_b32_e32 v31, 16, v5
	s_waitcnt lgkmcnt(2)
	v_lshrrev_b32_e32 v37, 16, v12
	v_lshrrev_b32_e32 v30, 16, v0
	;; [unrolled: 1-line block ×4, first 2 shown]
	s_waitcnt lgkmcnt(0)
	v_lshrrev_b32_e32 v38, 16, v36
	v_lshrrev_b32_e32 v29, 16, v6
	;; [unrolled: 1-line block ×8, first 2 shown]
.LBB0_16:
	s_or_b64 exec, exec, s[4:5]
	s_barrier
	s_and_saveexec_b64 s[4:5], vcc
	s_cbranch_execz .LBB0_18
; %bb.17:
	v_add_u32_e32 v40, -13, v24
	v_cndmask_b32_e32 v24, v40, v24, vcc
	v_mul_i32_i24_e32 v40, 15, v24
	v_mov_b32_e32 v41, 0
	v_lshlrev_b64 v[40:41], 2, v[40:41]
	v_mov_b32_e32 v24, s15
	v_add_co_u32_e32 v55, vcc, s14, v40
	v_addc_co_u32_e32 v56, vcc, v24, v41, vcc
	global_load_dwordx4 v[40:43], v[55:56], off offset:16
	global_load_dwordx4 v[44:47], v[55:56], off
	global_load_dwordx3 v[52:54], v[55:56], off offset:48
	global_load_dwordx4 v[48:51], v[55:56], off offset:32
	v_lshrrev_b32_e32 v24, 16, v11
	s_movk_i32 s6, 0x39a8
	s_mov_b32 s7, 0xb9a8
	s_mov_b32 s14, 0xb61f
	;; [unrolled: 1-line block ×3, first 2 shown]
	s_movk_i32 s16, 0x3b64
	s_movk_i32 s17, 0x361f
	s_waitcnt vmcnt(3)
	v_mul_f16_sdwa v55, v24, v43 dst_sel:DWORD dst_unused:UNUSED_PAD src0_sel:DWORD src1_sel:WORD_1
	s_waitcnt vmcnt(2)
	v_mul_f16_sdwa v56, v3, v47 dst_sel:DWORD dst_unused:UNUSED_PAD src0_sel:DWORD src1_sel:WORD_1
	s_waitcnt vmcnt(1)
	v_mul_f16_sdwa v58, v39, v53 dst_sel:DWORD dst_unused:UNUSED_PAD src0_sel:DWORD src1_sel:WORD_1
	v_mul_f16_sdwa v59, v37, v52 dst_sel:DWORD dst_unused:UNUSED_PAD src0_sel:DWORD src1_sel:WORD_1
	v_mul_f16_sdwa v57, v13, v53 dst_sel:DWORD dst_unused:UNUSED_PAD src0_sel:DWORD src1_sel:WORD_1
	v_fma_f16 v13, v13, v53, -v58
	v_fma_f16 v58, v12, v52, -v59
	v_mul_f16_sdwa v12, v12, v52 dst_sel:DWORD dst_unused:UNUSED_PAD src0_sel:DWORD src1_sel:WORD_1
	v_fma_f16 v12, v37, v52, v12
	v_mul_f16_sdwa v37, v36, v54 dst_sel:DWORD dst_unused:UNUSED_PAD src0_sel:DWORD src1_sel:WORD_1
	v_fma_f16 v37, v38, v54, v37
	;; [unrolled: 2-line block ×3, first 2 shown]
	v_fma_f16 v36, v36, v54, -v38
	v_mul_f16_sdwa v38, v7, v45 dst_sel:DWORD dst_unused:UNUSED_PAD src0_sel:DWORD src1_sel:WORD_1
	v_mul_f16_sdwa v52, v35, v41 dst_sel:DWORD dst_unused:UNUSED_PAD src0_sel:DWORD src1_sel:WORD_1
	;; [unrolled: 1-line block ×6, first 2 shown]
	v_fma_f16 v9, v9, v41, -v52
	v_fma_f16 v8, v8, v40, -v57
	v_mul_f16_sdwa v52, v10, v42 dst_sel:DWORD dst_unused:UNUSED_PAD src0_sel:DWORD src1_sel:WORD_1
	v_mul_f16_sdwa v57, v34, v42 dst_sel:DWORD dst_unused:UNUSED_PAD src0_sel:DWORD src1_sel:WORD_1
	v_fma_f16 v26, v26, v45, v38
	s_waitcnt vmcnt(0)
	v_mul_f16_sdwa v38, v5, v49 dst_sel:DWORD dst_unused:UNUSED_PAD src0_sel:DWORD src1_sel:WORD_1
	v_fma_f16 v10, v10, v42, -v57
	v_mul_f16_sdwa v57, v29, v44 dst_sel:DWORD dst_unused:UNUSED_PAD src0_sel:DWORD src1_sel:WORD_1
	v_fma_f16 v7, v7, v45, -v59
	v_mul_f16_sdwa v59, v1, v51 dst_sel:DWORD dst_unused:UNUSED_PAD src0_sel:DWORD src1_sel:WORD_1
	v_fma_f16 v35, v35, v41, v53
	v_mul_f16_sdwa v41, v31, v49 dst_sel:DWORD dst_unused:UNUSED_PAD src0_sel:DWORD src1_sel:WORD_1
	v_fma_f16 v31, v31, v49, v38
	v_mul_f16_sdwa v38, v27, v48 dst_sel:DWORD dst_unused:UNUSED_PAD src0_sel:DWORD src1_sel:WORD_1
	v_fma_f16 v34, v34, v42, v52
	v_mul_f16_sdwa v42, v2, v46 dst_sel:DWORD dst_unused:UNUSED_PAD src0_sel:DWORD src1_sel:WORD_1
	v_fma_f16 v55, v11, v43, -v55
	v_mul_f16_sdwa v11, v11, v43 dst_sel:DWORD dst_unused:UNUSED_PAD src0_sel:DWORD src1_sel:WORD_1
	v_fma_f16 v57, v6, v44, -v57
	v_mul_f16_sdwa v6, v6, v44 dst_sel:DWORD dst_unused:UNUSED_PAD src0_sel:DWORD src1_sel:WORD_1
	v_fma_f16 v33, v33, v40, v54
	v_mul_f16_sdwa v40, v25, v46 dst_sel:DWORD dst_unused:UNUSED_PAD src0_sel:DWORD src1_sel:WORD_1
	v_fma_f16 v25, v25, v46, v42
	v_mul_f16_sdwa v42, v0, v50 dst_sel:DWORD dst_unused:UNUSED_PAD src0_sel:DWORD src1_sel:WORD_1
	v_fma_f16 v45, v32, v47, v56
	v_mul_f16_sdwa v32, v32, v47 dst_sel:DWORD dst_unused:UNUSED_PAD src0_sel:DWORD src1_sel:WORD_1
	v_fma_f16 v52, v28, v51, v59
	v_fma_f16 v38, v4, v48, -v38
	v_mul_f16_sdwa v4, v4, v48 dst_sel:DWORD dst_unused:UNUSED_PAD src0_sel:DWORD src1_sel:WORD_1
	v_mul_f16_sdwa v28, v28, v51 dst_sel:DWORD dst_unused:UNUSED_PAD src0_sel:DWORD src1_sel:WORD_1
	v_fma_f16 v42, v30, v50, v42
	v_mul_f16_sdwa v30, v30, v50 dst_sel:DWORD dst_unused:UNUSED_PAD src0_sel:DWORD src1_sel:WORD_1
	v_fma_f16 v11, v24, v43, v11
	v_fma_f16 v6, v29, v44, v6
	v_fma_f16 v3, v3, v47, -v32
	v_fma_f16 v4, v27, v48, v4
	v_fma_f16 v1, v1, v51, -v28
	v_lshrrev_b32_e32 v28, 16, v23
	v_fma_f16 v5, v5, v49, -v41
	v_fma_f16 v2, v2, v46, -v40
	;; [unrolled: 1-line block ×3, first 2 shown]
	v_sub_f16_e32 v31, v26, v31
	v_sub_f16_e32 v13, v9, v13
	;; [unrolled: 1-line block ×15, first 2 shown]
	v_add_f16_e32 v41, v31, v13
	v_add_f16_e32 v44, v38, v36
	;; [unrolled: 1-line block ×4, first 2 shown]
	v_sub_f16_e32 v12, v33, v12
	v_sub_f16_e32 v39, v24, v29
	;; [unrolled: 1-line block ×4, first 2 shown]
	v_fma_f16 v53, v44, s6, v48
	v_fma_f16 v55, v41, s6, v51
	v_sub_f16_e32 v42, v32, v12
	v_fma_f16 v46, v40, s6, v39
	v_fma_f16 v53, v43, s6, v53
	;; [unrolled: 1-line block ×5, first 2 shown]
	v_fma_f16 v54, v48, 2.0, -v53
	v_fma_f16 v56, v51, 2.0, -v55
	v_fma_f16 v40, v5, 2.0, -v40
	v_fma_f16 v43, v0, 2.0, -v43
	v_fma_f16 v48, v4, 2.0, -v48
	v_fma_f16 v51, v11, 2.0, -v51
	v_fma_f16 v4, v6, 2.0, -v4
	v_fma_f16 v6, v33, 2.0, -v12
	v_fma_f16 v0, v2, 2.0, -v0
	v_fma_f16 v2, v10, 2.0, -v36
	v_fma_f16 v11, v28, 2.0, -v11
	v_fma_f16 v28, v45, 2.0, -v29
	v_fma_f16 v5, v7, 2.0, -v5
	v_fma_f16 v7, v9, 2.0, -v13
	v_fma_f16 v47, v44, s7, v47
	v_fma_f16 v49, v39, 2.0, -v46
	v_fma_f16 v39, v24, 2.0, -v39
	;; [unrolled: 1-line block ×10, first 2 shown]
	v_sub_f16_e32 v6, v4, v6
	v_sub_f16_e32 v2, v0, v2
	;; [unrolled: 1-line block ×4, first 2 shown]
	v_fma_f16 v50, v42, 2.0, -v47
	v_sub_f16_e32 v1, v23, v1
	v_sub_f16_e32 v24, v3, v24
	;; [unrolled: 1-line block ×4, first 2 shown]
	v_add_f16_e32 v10, v6, v2
	v_add_f16_e32 v9, v28, v7
	v_fma_f16 v52, v50, s14, v49
	v_fma_f16 v41, v31, 2.0, -v41
	v_sub_f16_e32 v26, v1, v24
	v_sub_f16_e32 v31, v8, v27
	v_fma_f16 v13, v10, s6, v9
	v_fma_f16 v52, v54, s15, v52
	;; [unrolled: 1-line block ×3, first 2 shown]
	v_fma_f16 v42, v32, 2.0, -v42
	v_fma_f16 v32, v31, s6, v26
	v_fma_f16 v13, v31, s6, v13
	v_fma_f16 v33, v1, 2.0, -v26
	v_fma_f16 v31, v8, 2.0, -v31
	v_fma_f16 v50, v50, s16, v54
	v_fma_f16 v54, v40, s7, v39
	;; [unrolled: 1-line block ×3, first 2 shown]
	v_fma_f16 v44, v38, 2.0, -v44
	v_fma_f16 v12, v10, s7, v32
	v_fma_f16 v34, v31, s7, v33
	v_fma_f16 v10, v6, 2.0, -v10
	v_fma_f16 v35, v28, 2.0, -v9
	;; [unrolled: 1-line block ×6, first 2 shown]
	v_fma_f16 v54, v41, s7, v54
	v_fma_f16 v58, v44, s7, v58
	;; [unrolled: 1-line block ×6, first 2 shown]
	v_fma_f16 v1, v23, 2.0, -v1
	v_fma_f16 v5, v5, 2.0, -v7
	v_fma_f16 v4, v4, 2.0, -v6
	v_fma_f16 v6, v25, 2.0, -v27
	v_sub_f16_e32 v3, v11, v3
	v_sub_f16_e32 v0, v8, v0
	v_fma_f16 v43, v43, s6, v44
	v_fma_f16 v40, v40, s6, v41
	v_fma_f16 v10, v31, s6, v10
	v_sub_f16_e32 v5, v1, v5
	v_sub_f16_e32 v6, v4, v6
	v_add_f16_e32 v2, v3, v0
	v_fma_f16 v28, v39, 2.0, -v54
	v_fma_f16 v30, v42, 2.0, -v58
	;; [unrolled: 1-line block ×5, first 2 shown]
	v_fma_f16 v33, v30, s15, v28
	v_fma_f16 v35, v48, 2.0, -v43
	v_fma_f16 v37, v51, 2.0, -v40
	v_fma_f16 v1, v1, 2.0, -v5
	v_fma_f16 v0, v8, 2.0, -v0
	v_fma_f16 v3, v11, 2.0, -v3
	v_fma_f16 v4, v4, 2.0, -v6
	v_fma_f16 v33, v35, s14, v33
	v_fma_f16 v35, v35, s15, v37
	v_sub_f16_e32 v0, v1, v0
	v_sub_f16_e32 v4, v3, v4
	v_fma_f16 v59, v58, s17, v54
	v_fma_f16 v30, v30, s17, v35
	v_fma_f16 v1, v1, 2.0, -v0
	v_fma_f16 v3, v3, 2.0, -v4
	v_fma_f16 v44, v43, s15, v59
	v_fma_f16 v41, v43, s17, v40
	;; [unrolled: 1-line block ×3, first 2 shown]
	v_sub_f16_e32 v7, v5, v6
	v_fma_f16 v28, v28, 2.0, -v33
	v_fma_f16 v35, v37, 2.0, -v30
	v_pack_b32_f16 v1, v1, v3
	v_fma_f16 v41, v58, s16, v41
	v_fma_f16 v59, v53, s14, v59
	v_fma_f16 v53, v53, s16, v55
	v_fma_f16 v31, v49, 2.0, -v52
	v_fma_f16 v36, v56, 2.0, -v50
	;; [unrolled: 1-line block ×3, first 2 shown]
	ds_write_b32 v22, v1
	v_pack_b32_f16 v1, v28, v35
	v_pack_b32_f16 v3, v23, v24
	v_fma_f16 v47, v47, s17, v53
	v_fma_f16 v29, v54, 2.0, -v44
	v_fma_f16 v32, v40, 2.0, -v41
	;; [unrolled: 1-line block ×4, first 2 shown]
	ds_write2_b32 v21, v1, v3 offset0:13 offset1:26
	v_pack_b32_f16 v1, v31, v36
	v_pack_b32_f16 v3, v25, v27
	v_fma_f16 v46, v46, 2.0, -v59
	v_fma_f16 v53, v55, 2.0, -v47
	ds_write2_b32 v21, v1, v3 offset0:39 offset1:52
	v_pack_b32_f16 v1, v29, v32
	v_pack_b32_f16 v3, v5, v6
	ds_write2_b32 v21, v1, v3 offset0:65 offset1:78
	v_pack_b32_f16 v1, v46, v53
	v_pack_b32_f16 v0, v0, v4
	;; [unrolled: 3-line block ×5, first 2 shown]
	ds_write2_b32 v21, v0, v1 offset0:169 offset1:182
	v_pack_b32_f16 v0, v59, v47
	ds_write_b32 v21, v0 offset:780
.LBB0_18:
	s_or_b64 exec, exec, s[4:5]
	s_waitcnt lgkmcnt(0)
	s_barrier
	s_and_saveexec_b64 s[4:5], s[0:1]
	s_cbranch_execz .LBB0_20
; %bb.19:
	v_mad_u64_u32 v[0:1], s[0:1], s10, v19, 0
	v_mad_u64_u32 v[2:3], s[0:1], s8, v14, 0
	v_or_b32_e32 v11, 0x60, v14
	v_mad_u64_u32 v[4:5], s[0:1], s11, v19, v[1:2]
	v_mov_b32_e32 v1, v3
	v_mad_u64_u32 v[5:6], s[0:1], s9, v14, v[1:2]
	v_mov_b32_e32 v1, v4
	s_lshl_b64 s[0:1], s[2:3], 2
	v_mul_u32_u24_e32 v4, 0x340, v19
	s_add_u32 s0, s12, s0
	v_lshlrev_b64 v[0:1], 2, v[0:1]
	v_add3_u32 v8, 0, v4, v20
	s_addc_u32 s1, s13, s1
	v_mov_b32_e32 v3, v5
	ds_read2_b32 v[4:5], v8 offset1:16
	v_mov_b32_e32 v6, s1
	v_add_co_u32_e32 v9, vcc, s0, v0
	v_addc_co_u32_e32 v10, vcc, v6, v1, vcc
	v_lshlrev_b64 v[0:1], 2, v[2:3]
	v_mad_u64_u32 v[2:3], s[0:1], s8, v18, 0
	v_add_co_u32_e32 v0, vcc, v9, v0
	v_addc_co_u32_e32 v1, vcc, v10, v1, vcc
	s_waitcnt lgkmcnt(0)
	global_store_dword v[0:1], v4, off
	v_mov_b32_e32 v0, v3
	v_mad_u64_u32 v[0:1], s[0:1], s9, v18, v[0:1]
	v_mad_u64_u32 v[6:7], s[0:1], s8, v17, 0
	v_mov_b32_e32 v3, v0
	v_lshlrev_b64 v[0:1], 2, v[2:3]
	v_mov_b32_e32 v2, v7
	v_mad_u64_u32 v[2:3], s[0:1], s9, v17, v[2:3]
	v_add_co_u32_e32 v0, vcc, v9, v0
	v_addc_co_u32_e32 v1, vcc, v10, v1, vcc
	global_store_dword v[0:1], v5, off
	v_mov_b32_e32 v7, v2
	ds_read2_b32 v[0:1], v8 offset0:32 offset1:48
	v_lshlrev_b64 v[2:3], 2, v[6:7]
	v_mad_u64_u32 v[4:5], s[0:1], s8, v16, 0
	v_add_co_u32_e32 v2, vcc, v9, v2
	v_addc_co_u32_e32 v3, vcc, v10, v3, vcc
	s_waitcnt lgkmcnt(0)
	global_store_dword v[2:3], v0, off
	v_mov_b32_e32 v0, v5
	v_mad_u64_u32 v[2:3], s[0:1], s9, v16, v[0:1]
	v_mad_u64_u32 v[6:7], s[0:1], s8, v15, 0
	v_mov_b32_e32 v5, v2
	v_lshlrev_b64 v[2:3], 2, v[4:5]
	v_mov_b32_e32 v0, v7
	v_mad_u64_u32 v[4:5], s[0:1], s9, v15, v[0:1]
	v_add_co_u32_e32 v2, vcc, v9, v2
	v_addc_co_u32_e32 v3, vcc, v10, v3, vcc
	v_mov_b32_e32 v7, v4
	global_store_dword v[2:3], v1, off
	ds_read2_b32 v[0:1], v8 offset0:64 offset1:80
	v_lshlrev_b64 v[2:3], 2, v[6:7]
	v_add_u32_e32 v6, 0x50, v14
	v_mad_u64_u32 v[4:5], s[0:1], s8, v6, 0
	v_add_co_u32_e32 v2, vcc, v9, v2
	v_addc_co_u32_e32 v3, vcc, v10, v3, vcc
	s_waitcnt lgkmcnt(0)
	global_store_dword v[2:3], v0, off
	v_mov_b32_e32 v0, v5
	v_mad_u64_u32 v[2:3], s[0:1], s9, v6, v[0:1]
	v_mad_u64_u32 v[6:7], s[0:1], s8, v11, 0
	v_mov_b32_e32 v5, v2
	v_lshlrev_b64 v[2:3], 2, v[4:5]
	v_mov_b32_e32 v0, v7
	v_mad_u64_u32 v[4:5], s[0:1], s9, v11, v[0:1]
	v_add_co_u32_e32 v2, vcc, v9, v2
	v_addc_co_u32_e32 v3, vcc, v10, v3, vcc
	v_mov_b32_e32 v7, v4
	global_store_dword v[2:3], v1, off
	ds_read2_b32 v[0:1], v8 offset0:96 offset1:112
	v_lshlrev_b64 v[2:3], 2, v[6:7]
	v_add_u32_e32 v6, 0x70, v14
	v_mad_u64_u32 v[4:5], s[0:1], s8, v6, 0
	v_add_co_u32_e32 v2, vcc, v9, v2
	v_addc_co_u32_e32 v3, vcc, v10, v3, vcc
	s_waitcnt lgkmcnt(0)
	global_store_dword v[2:3], v0, off
	v_mov_b32_e32 v0, v5
	v_or_b32_e32 v11, 0x80, v14
	v_mad_u64_u32 v[2:3], s[0:1], s9, v6, v[0:1]
	v_mad_u64_u32 v[6:7], s[0:1], s8, v11, 0
	v_mov_b32_e32 v5, v2
	v_lshlrev_b64 v[2:3], 2, v[4:5]
	v_mov_b32_e32 v0, v7
	v_mad_u64_u32 v[4:5], s[0:1], s9, v11, v[0:1]
	v_add_co_u32_e32 v2, vcc, v9, v2
	v_addc_co_u32_e32 v3, vcc, v10, v3, vcc
	v_mov_b32_e32 v7, v4
	global_store_dword v[2:3], v1, off
	ds_read2_b32 v[0:1], v8 offset0:128 offset1:144
	v_lshlrev_b64 v[2:3], 2, v[6:7]
	v_add_u32_e32 v6, 0x90, v14
	v_mad_u64_u32 v[4:5], s[0:1], s8, v6, 0
	v_add_co_u32_e32 v2, vcc, v9, v2
	v_addc_co_u32_e32 v3, vcc, v10, v3, vcc
	s_waitcnt lgkmcnt(0)
	global_store_dword v[2:3], v0, off
	v_mov_b32_e32 v0, v5
	v_or_b32_e32 v11, 0xa0, v14
	;; [unrolled: 20-line block ×3, first 2 shown]
	v_mad_u64_u32 v[2:3], s[0:1], s9, v6, v[0:1]
	v_mad_u64_u32 v[6:7], s[0:1], s8, v11, 0
	v_mov_b32_e32 v5, v2
	v_lshlrev_b64 v[2:3], 2, v[4:5]
	v_mov_b32_e32 v0, v7
	v_mad_u64_u32 v[4:5], s[0:1], s9, v11, v[0:1]
	v_add_co_u32_e32 v2, vcc, v9, v2
	v_addc_co_u32_e32 v3, vcc, v10, v3, vcc
	global_store_dword v[2:3], v1, off
	v_mov_b32_e32 v7, v4
	ds_read_b32 v2, v8 offset:768
	v_lshlrev_b64 v[0:1], 2, v[6:7]
	v_add_co_u32_e32 v0, vcc, v9, v0
	v_addc_co_u32_e32 v1, vcc, v10, v1, vcc
	s_waitcnt lgkmcnt(0)
	global_store_dword v[0:1], v2, off
.LBB0_20:
	s_endpgm
	.section	.rodata,"a",@progbits
	.p2align	6, 0x0
	.amdhsa_kernel fft_rtc_fwd_len208_factors_13_16_wgs_144_tpt_16_half_ip_CI_sbcc
		.amdhsa_group_segment_fixed_size 0
		.amdhsa_private_segment_fixed_size 0
		.amdhsa_kernarg_size 96
		.amdhsa_user_sgpr_count 6
		.amdhsa_user_sgpr_private_segment_buffer 1
		.amdhsa_user_sgpr_dispatch_ptr 0
		.amdhsa_user_sgpr_queue_ptr 0
		.amdhsa_user_sgpr_kernarg_segment_ptr 1
		.amdhsa_user_sgpr_dispatch_id 0
		.amdhsa_user_sgpr_flat_scratch_init 0
		.amdhsa_user_sgpr_private_segment_size 0
		.amdhsa_uses_dynamic_stack 0
		.amdhsa_system_sgpr_private_segment_wavefront_offset 0
		.amdhsa_system_sgpr_workgroup_id_x 1
		.amdhsa_system_sgpr_workgroup_id_y 0
		.amdhsa_system_sgpr_workgroup_id_z 0
		.amdhsa_system_sgpr_workgroup_info 0
		.amdhsa_system_vgpr_workitem_id 0
		.amdhsa_next_free_vgpr 60
		.amdhsa_next_free_sgpr 43
		.amdhsa_reserve_vcc 1
		.amdhsa_reserve_flat_scratch 0
		.amdhsa_float_round_mode_32 0
		.amdhsa_float_round_mode_16_64 0
		.amdhsa_float_denorm_mode_32 3
		.amdhsa_float_denorm_mode_16_64 3
		.amdhsa_dx10_clamp 1
		.amdhsa_ieee_mode 1
		.amdhsa_fp16_overflow 0
		.amdhsa_exception_fp_ieee_invalid_op 0
		.amdhsa_exception_fp_denorm_src 0
		.amdhsa_exception_fp_ieee_div_zero 0
		.amdhsa_exception_fp_ieee_overflow 0
		.amdhsa_exception_fp_ieee_underflow 0
		.amdhsa_exception_fp_ieee_inexact 0
		.amdhsa_exception_int_div_zero 0
	.end_amdhsa_kernel
	.text
.Lfunc_end0:
	.size	fft_rtc_fwd_len208_factors_13_16_wgs_144_tpt_16_half_ip_CI_sbcc, .Lfunc_end0-fft_rtc_fwd_len208_factors_13_16_wgs_144_tpt_16_half_ip_CI_sbcc
                                        ; -- End function
	.section	.AMDGPU.csdata,"",@progbits
; Kernel info:
; codeLenInByte = 8420
; NumSgprs: 47
; NumVgprs: 60
; ScratchSize: 0
; MemoryBound: 0
; FloatMode: 240
; IeeeMode: 1
; LDSByteSize: 0 bytes/workgroup (compile time only)
; SGPRBlocks: 5
; VGPRBlocks: 14
; NumSGPRsForWavesPerEU: 47
; NumVGPRsForWavesPerEU: 60
; Occupancy: 4
; WaveLimiterHint : 1
; COMPUTE_PGM_RSRC2:SCRATCH_EN: 0
; COMPUTE_PGM_RSRC2:USER_SGPR: 6
; COMPUTE_PGM_RSRC2:TRAP_HANDLER: 0
; COMPUTE_PGM_RSRC2:TGID_X_EN: 1
; COMPUTE_PGM_RSRC2:TGID_Y_EN: 0
; COMPUTE_PGM_RSRC2:TGID_Z_EN: 0
; COMPUTE_PGM_RSRC2:TIDIG_COMP_CNT: 0
	.type	__hip_cuid_6ce2d65d7b88f346,@object ; @__hip_cuid_6ce2d65d7b88f346
	.section	.bss,"aw",@nobits
	.globl	__hip_cuid_6ce2d65d7b88f346
__hip_cuid_6ce2d65d7b88f346:
	.byte	0                               ; 0x0
	.size	__hip_cuid_6ce2d65d7b88f346, 1

	.ident	"AMD clang version 19.0.0git (https://github.com/RadeonOpenCompute/llvm-project roc-6.4.0 25133 c7fe45cf4b819c5991fe208aaa96edf142730f1d)"
	.section	".note.GNU-stack","",@progbits
	.addrsig
	.addrsig_sym __hip_cuid_6ce2d65d7b88f346
	.amdgpu_metadata
---
amdhsa.kernels:
  - .args:
      - .actual_access:  read_only
        .address_space:  global
        .offset:         0
        .size:           8
        .value_kind:     global_buffer
      - .address_space:  global
        .offset:         8
        .size:           8
        .value_kind:     global_buffer
      - .offset:         16
        .size:           8
        .value_kind:     by_value
      - .actual_access:  read_only
        .address_space:  global
        .offset:         24
        .size:           8
        .value_kind:     global_buffer
      - .actual_access:  read_only
        .address_space:  global
        .offset:         32
        .size:           8
        .value_kind:     global_buffer
      - .offset:         40
        .size:           8
        .value_kind:     by_value
      - .actual_access:  read_only
        .address_space:  global
        .offset:         48
        .size:           8
        .value_kind:     global_buffer
      - .actual_access:  read_only
        .address_space:  global
        .offset:         56
        .size:           8
        .value_kind:     global_buffer
      - .offset:         64
        .size:           4
        .value_kind:     by_value
      - .actual_access:  read_only
        .address_space:  global
        .offset:         72
        .size:           8
        .value_kind:     global_buffer
      - .actual_access:  read_only
        .address_space:  global
        .offset:         80
        .size:           8
        .value_kind:     global_buffer
      - .address_space:  global
        .offset:         88
        .size:           8
        .value_kind:     global_buffer
    .group_segment_fixed_size: 0
    .kernarg_segment_align: 8
    .kernarg_segment_size: 96
    .language:       OpenCL C
    .language_version:
      - 2
      - 0
    .max_flat_workgroup_size: 144
    .name:           fft_rtc_fwd_len208_factors_13_16_wgs_144_tpt_16_half_ip_CI_sbcc
    .private_segment_fixed_size: 0
    .sgpr_count:     47
    .sgpr_spill_count: 0
    .symbol:         fft_rtc_fwd_len208_factors_13_16_wgs_144_tpt_16_half_ip_CI_sbcc.kd
    .uniform_work_group_size: 1
    .uses_dynamic_stack: false
    .vgpr_count:     60
    .vgpr_spill_count: 0
    .wavefront_size: 64
amdhsa.target:   amdgcn-amd-amdhsa--gfx906
amdhsa.version:
  - 1
  - 2
...

	.end_amdgpu_metadata
